;; amdgpu-corpus repo=ROCm/rocFFT kind=compiled arch=gfx1201 opt=O3
	.text
	.amdgcn_target "amdgcn-amd-amdhsa--gfx1201"
	.amdhsa_code_object_version 6
	.protected	fft_rtc_back_len243_factors_9_3_9_wgs_189_tpt_27_dim1_dp_ip_CI_sbrr_dirReg ; -- Begin function fft_rtc_back_len243_factors_9_3_9_wgs_189_tpt_27_dim1_dp_ip_CI_sbrr_dirReg
	.globl	fft_rtc_back_len243_factors_9_3_9_wgs_189_tpt_27_dim1_dp_ip_CI_sbrr_dirReg
	.p2align	8
	.type	fft_rtc_back_len243_factors_9_3_9_wgs_189_tpt_27_dim1_dp_ip_CI_sbrr_dirReg,@function
fft_rtc_back_len243_factors_9_3_9_wgs_189_tpt_27_dim1_dp_ip_CI_sbrr_dirReg: ; @fft_rtc_back_len243_factors_9_3_9_wgs_189_tpt_27_dim1_dp_ip_CI_sbrr_dirReg
; %bb.0:
	s_load_b128 s[8:11], s[0:1], 0x10
	v_mul_u32_u24_e32 v1, 0x97c, v0
	s_load_b64 s[2:3], s[0:1], 0x48
	s_delay_alu instid0(VALU_DEP_1) | instskip(NEXT) | instid1(VALU_DEP_1)
	v_lshrrev_b32_e32 v3, 16, v1
	v_mad_co_u64_u32 v[38:39], null, ttmp9, 7, v[3:4]
	v_mul_lo_u16 v3, v3, 27
	v_mov_b32_e32 v39, 0
	s_delay_alu instid0(VALU_DEP_2) | instskip(SKIP_3) | instid1(VALU_DEP_4)
	v_sub_nc_u16 v3, v0, v3
	s_wait_kmcnt 0x0
	s_load_b128 s[4:7], s[8:9], 0x0
	s_load_b64 s[8:9], s[0:1], 0x0
	v_cmp_gt_u64_e32 vcc_lo, s[10:11], v[38:39]
	v_and_b32_e32 v42, 0xffff, v3
	v_cmp_le_u64_e64 s0, s[10:11], v[38:39]
	s_delay_alu instid0(VALU_DEP_2) | instskip(SKIP_3) | instid1(VALU_DEP_1)
	v_add_nc_u32_e32 v41, 27, v42
	v_add_nc_u32_e32 v40, 54, v42
	s_wait_kmcnt 0x0
	v_mad_co_u64_u32 v[1:2], null, s6, v38, 0
                                        ; implicit-def: $sgpr6
	v_mov_b32_e32 v0, v2
	s_delay_alu instid0(VALU_DEP_1)
	v_mad_co_u64_u32 v[2:3], null, s7, v38, v[0:1]
	s_and_saveexec_b32 s1, s0
	s_wait_alu 0xfffe
	s_xor_b32 s0, exec_lo, s1
; %bb.1:
	v_add_nc_u32_e32 v41, 27, v42
	v_add_nc_u32_e32 v40, 54, v42
	s_mov_b32 s6, 0
; %bb.2:
	s_wait_alu 0xfffe
	s_or_saveexec_b32 s1, s0
	v_lshlrev_b64_e32 v[36:37], 4, v[1:2]
	v_mov_b32_e32 v39, s6
                                        ; implicit-def: $vgpr34_vgpr35
                                        ; implicit-def: $vgpr30_vgpr31
                                        ; implicit-def: $vgpr22_vgpr23
                                        ; implicit-def: $vgpr6_vgpr7
                                        ; implicit-def: $vgpr10_vgpr11
                                        ; implicit-def: $vgpr14_vgpr15
                                        ; implicit-def: $vgpr26_vgpr27
                                        ; implicit-def: $vgpr18_vgpr19
                                        ; implicit-def: $vgpr2_vgpr3
	s_wait_alu 0xfffe
	s_xor_b32 exec_lo, exec_lo, s1
	s_cbranch_execz .LBB0_4
; %bb.3:
	v_mad_co_u64_u32 v[0:1], null, s4, v42, 0
	v_mad_co_u64_u32 v[2:3], null, s4, v41, 0
	v_mad_co_u64_u32 v[4:5], null, s4, v40, 0
	v_add_nc_u32_e32 v10, 0x51, v42
	v_add_nc_u32_e32 v34, 0xbd, v42
	v_add_co_u32 v32, s0, s2, v36
	v_mad_co_u64_u32 v[6:7], null, s5, v42, v[1:2]
	v_mad_co_u64_u32 v[7:8], null, s5, v41, v[3:4]
	v_mov_b32_e32 v3, v5
	v_mad_co_u64_u32 v[8:9], null, s4, v10, 0
	v_mad_co_u64_u32 v[28:29], null, s4, v34, 0
	v_add_nc_u32_e32 v11, 0x6c, v42
	v_mov_b32_e32 v1, v6
	v_mad_co_u64_u32 v[5:6], null, s5, v40, v[3:4]
	v_mov_b32_e32 v6, v9
	s_delay_alu instid0(VALU_DEP_4)
	v_mad_co_u64_u32 v[20:21], null, s4, v11, 0
	v_mov_b32_e32 v3, v7
	v_lshlrev_b64_e32 v[0:1], 4, v[0:1]
	s_wait_alu 0xf1ff
	v_add_co_ci_u32_e64 v33, s0, s3, v37, s0
	v_mad_co_u64_u32 v[6:7], null, s5, v10, v[6:7]
	v_lshlrev_b64_e32 v[2:3], 4, v[2:3]
	s_delay_alu instid0(VALU_DEP_4) | instskip(SKIP_3) | instid1(VALU_DEP_4)
	v_add_co_u32 v0, s0, v32, v0
	s_wait_alu 0xf1ff
	v_add_co_ci_u32_e64 v1, s0, v33, v1, s0
	v_add_nc_u32_e32 v12, 0x87, v42
	v_add_co_u32 v9, s0, v32, v2
	s_wait_alu 0xf1ff
	v_add_co_ci_u32_e64 v10, s0, v33, v3, s0
	s_clause 0x1
	global_load_b128 v[0:3], v[0:1], off
	global_load_b128 v[16:19], v[9:10], off
	v_dual_mov_b32 v9, v6 :: v_dual_mov_b32 v6, v21
	v_lshlrev_b64_e32 v[4:5], 4, v[4:5]
	v_add_nc_u32_e32 v35, 0xd8, v42
	v_mov_b32_e32 v39, v42
	s_delay_alu instid0(VALU_DEP_4) | instskip(NEXT) | instid1(VALU_DEP_4)
	v_lshlrev_b64_e32 v[7:8], 4, v[8:9]
	v_add_co_u32 v4, s0, v32, v4
	s_wait_alu 0xf1ff
	v_add_co_ci_u32_e64 v5, s0, v33, v5, s0
	s_delay_alu instid0(VALU_DEP_3)
	v_mad_co_u64_u32 v[9:10], null, s5, v11, v[6:7]
	v_mad_co_u64_u32 v[10:11], null, s4, v12, 0
	v_add_nc_u32_e32 v13, 0xa2, v42
	v_add_co_u32 v6, s0, v32, v7
	s_wait_alu 0xf1ff
	v_add_co_ci_u32_e64 v7, s0, v33, v8, s0
	s_delay_alu instid0(VALU_DEP_4) | instskip(SKIP_2) | instid1(VALU_DEP_2)
	v_dual_mov_b32 v21, v9 :: v_dual_mov_b32 v8, v11
	v_mad_co_u64_u32 v[22:23], null, s4, v13, 0
	v_mad_co_u64_u32 v[30:31], null, s4, v35, 0
	v_mov_b32_e32 v9, v23
	s_delay_alu instid0(VALU_DEP_1)
	v_mad_co_u64_u32 v[11:12], null, s5, v12, v[8:9]
	v_mad_co_u64_u32 v[8:9], null, s5, v13, v[9:10]
	s_clause 0x1
	global_load_b128 v[24:27], v[4:5], off
	global_load_b128 v[12:15], v[6:7], off
	v_lshlrev_b64_e32 v[5:6], 4, v[20:21]
	v_dual_mov_b32 v4, v29 :: v_dual_mov_b32 v23, v8
	s_delay_alu instid0(VALU_DEP_1)
	v_mad_co_u64_u32 v[7:8], null, s5, v34, v[4:5]
	v_mov_b32_e32 v4, v31
	v_add_co_u32 v5, s0, v32, v5
	v_lshlrev_b64_e32 v[8:9], 4, v[10:11]
	v_lshlrev_b64_e32 v[20:21], 4, v[22:23]
	s_wait_alu 0xf1ff
	v_add_co_ci_u32_e64 v6, s0, v33, v6, s0
	v_mad_co_u64_u32 v[10:11], null, s5, v35, v[4:5]
	v_mov_b32_e32 v29, v7
	v_add_co_u32 v22, s0, v32, v8
	s_wait_alu 0xf1ff
	v_add_co_ci_u32_e64 v23, s0, v33, v9, s0
	s_delay_alu instid0(VALU_DEP_3) | instskip(SKIP_4) | instid1(VALU_DEP_3)
	v_lshlrev_b64_e32 v[7:8], 4, v[28:29]
	v_mov_b32_e32 v31, v10
	v_add_co_u32 v20, s0, v32, v20
	s_wait_alu 0xf1ff
	v_add_co_ci_u32_e64 v21, s0, v33, v21, s0
	v_lshlrev_b64_e32 v[9:10], 4, v[30:31]
	v_add_co_u32 v28, s0, v32, v7
	s_wait_alu 0xf1ff
	v_add_co_ci_u32_e64 v29, s0, v33, v8, s0
	s_delay_alu instid0(VALU_DEP_3)
	v_add_co_u32 v32, s0, v32, v9
	s_wait_alu 0xf1ff
	v_add_co_ci_u32_e64 v33, s0, v33, v10, s0
	s_clause 0x4
	global_load_b128 v[8:11], v[5:6], off
	global_load_b128 v[4:7], v[22:23], off
	;; [unrolled: 1-line block ×5, first 2 shown]
.LBB0_4:
	s_or_b32 exec_lo, exec_lo, s1
	s_wait_loadcnt 0x0
	v_add_f64_e64 v[43:44], v[16:17], -v[32:33]
	v_add_f64_e64 v[45:46], v[18:19], -v[34:35]
	v_add_f64_e32 v[16:17], v[32:33], v[16:17]
	v_add_f64_e64 v[32:33], v[8:9], -v[4:5]
	v_add_f64_e64 v[47:48], v[10:11], -v[6:7]
	v_add_f64_e32 v[49:50], v[28:29], v[24:25]
	v_add_f64_e32 v[51:52], v[30:31], v[26:27]
	;; [unrolled: 1-line block ×5, first 2 shown]
	s_mov_b32 s18, 0x523c161c
	s_mov_b32 s14, 0x8c811c17
	;; [unrolled: 1-line block ×8, first 2 shown]
	v_add_f64_e64 v[24:25], v[24:25], -v[28:29]
	v_add_f64_e64 v[26:27], v[26:27], -v[30:31]
	v_add_f64_e32 v[75:76], v[20:21], v[12:13]
	v_add_f64_e32 v[77:78], v[22:23], v[14:15]
	v_add_f64_e64 v[12:13], v[12:13], -v[20:21]
	v_add_f64_e64 v[14:15], v[14:15], -v[22:23]
	s_mov_b32 s22, 0x7e0b738b
	s_mov_b32 s23, 0x3fc63a1a
	;; [unrolled: 1-line block ×5, first 2 shown]
	s_wait_alu 0xfffe
	s_mov_b32 s6, s0
	s_mov_b32 s10, 0x748a0bf8
	;; [unrolled: 1-line block ×9, first 2 shown]
	v_mul_f64_e32 v[28:29], s[18:19], v[43:44]
	v_mul_f64_e32 v[30:31], s[18:19], v[45:46]
	v_fma_f64 v[34:35], v[16:17], s[16:17], v[0:1]
	v_mul_f64_e32 v[57:58], s[20:21], v[32:33]
	v_mul_f64_e32 v[59:60], s[20:21], v[47:48]
	;; [unrolled: 1-line block ×4, first 2 shown]
	v_fma_f64 v[65:66], v[49:50], s[16:17], v[0:1]
	v_fma_f64 v[67:68], v[51:52], s[16:17], v[2:3]
	;; [unrolled: 1-line block ×5, first 2 shown]
	v_add_f64_e32 v[20:21], v[49:50], v[16:17]
	v_add_f64_e32 v[22:23], v[51:52], v[18:19]
	;; [unrolled: 1-line block ×6, first 2 shown]
	v_fma_f64 v[28:29], v[24:25], s[14:15], v[28:29]
	v_fma_f64 v[30:31], v[26:27], s[14:15], v[30:31]
	;; [unrolled: 1-line block ×5, first 2 shown]
	v_fma_f64 v[61:62], v[24:25], s[20:21], -v[61:62]
	v_fma_f64 v[63:64], v[26:27], s[20:21], -v[63:64]
	v_fma_f64 v[65:66], v[53:54], s[22:23], v[65:66]
	v_fma_f64 v[67:68], v[55:56], s[22:23], v[67:68]
	v_fma_f64 v[69:70], v[16:17], s[22:23], v[69:70]
	v_fma_f64 v[71:72], v[18:19], s[22:23], v[71:72]
	v_fma_f64 v[73:74], v[51:52], s[22:23], v[73:74]
	v_add_f64_e32 v[87:88], v[53:54], v[20:21]
	v_add_f64_e32 v[89:90], v[55:56], v[22:23]
	;; [unrolled: 1-line block ×4, first 2 shown]
	v_fma_f64 v[28:29], v[12:13], s[0:1], v[28:29]
	v_fma_f64 v[30:31], v[14:15], s[0:1], v[30:31]
	v_fma_f64 v[34:35], v[75:76], -0.5, v[34:35]
	s_wait_alu 0xfffe
	v_fma_f64 v[57:58], v[12:13], s[6:7], v[57:58]
	v_fma_f64 v[59:60], v[14:15], s[6:7], v[59:60]
	;; [unrolled: 1-line block ×4, first 2 shown]
	v_fma_f64 v[61:62], v[75:76], -0.5, v[65:66]
	v_fma_f64 v[63:64], v[77:78], -0.5, v[67:68]
	;; [unrolled: 1-line block ×5, first 2 shown]
	v_add_f64_e64 v[71:72], v[79:80], -v[24:25]
	v_fma_f64 v[77:78], v[89:90], -0.5, v[85:86]
	v_add_f64_e32 v[8:9], v[8:9], v[20:21]
	v_add_f64_e32 v[10:11], v[10:11], v[22:23]
	v_add_f64_e64 v[73:74], v[81:82], -v[26:27]
	v_fma_f64 v[75:76], v[87:88], -0.5, v[83:84]
	v_fma_f64 v[79:80], v[32:33], s[10:11], v[28:29]
	v_fma_f64 v[28:29], v[47:48], s[10:11], v[30:31]
	;; [unrolled: 1-line block ×12, first 2 shown]
	v_mul_f64_e32 v[24:25], s[0:1], v[71:72]
	v_mul_hi_u32 v49, 0x24924925, v38
	v_add_f64_e32 v[45:46], v[4:5], v[8:9]
	v_add_f64_e32 v[47:48], v[6:7], v[10:11]
	v_fma_f64 v[6:7], v[71:72], s[0:1], v[77:78]
	v_mul_f64_e32 v[43:44], s[0:1], v[73:74]
	v_fma_f64 v[4:5], v[73:74], s[6:7], v[75:76]
	v_and_b32_e32 v50, 0xff, v41
	v_add_f64_e64 v[8:9], v[20:21], -v[28:29]
	v_sub_nc_u32_e32 v20, v38, v49
	v_add_f64_e64 v[12:13], v[12:13], -v[32:33]
	v_add_f64_e32 v[14:15], v[30:31], v[14:15]
	v_add_f64_e64 v[16:17], v[16:17], -v[26:27]
	v_add_f64_e32 v[18:19], v[34:35], v[18:19]
	v_add_f64_e32 v[10:11], v[79:80], v[22:23]
	v_lshrrev_b32_e32 v20, 1, v20
	v_add_f64_e32 v[0:1], v[0:1], v[45:46]
	v_add_f64_e32 v[2:3], v[2:3], v[47:48]
	v_fma_f64 v[22:23], v[24:25], -2.0, v[6:7]
	s_delay_alu instid0(VALU_DEP_4) | instskip(SKIP_2) | instid1(VALU_DEP_3)
	v_add_nc_u32_e32 v20, v20, v49
	v_and_b32_e32 v49, 0xff, v42
	v_mul_lo_u16 v45, v50, 57
	v_lshrrev_b32_e32 v20, 2, v20
	s_delay_alu instid0(VALU_DEP_2) | instskip(NEXT) | instid1(VALU_DEP_2)
	v_lshrrev_b16 v76, 9, v45
	v_mul_lo_u32 v51, v20, 7
	v_fma_f64 v[20:21], v[43:44], 2.0, v[4:5]
	v_and_b32_e32 v43, 0xff, v40
	v_mul_lo_u16 v44, v49, 57
	s_delay_alu instid0(VALU_DEP_2) | instskip(SKIP_1) | instid1(VALU_DEP_3)
	v_mul_lo_u16 v43, v43, 57
	v_sub_nc_u32_e32 v38, v38, v51
	v_lshrrev_b16 v75, 9, v44
	v_mul_lo_u16 v44, v76, 9
	s_delay_alu instid0(VALU_DEP_4)
	v_lshrrev_b16 v77, 9, v43
	v_fma_f64 v[24:25], v[28:29], 2.0, v[8:9]
	v_mul_u32_u24_e32 v38, 0xf3, v38
	v_mul_lo_u16 v43, v75, 9
	v_sub_nc_u16 v44, v41, v44
	v_mul_lo_u16 v45, v77, 9
	v_fma_f64 v[28:29], v[32:33], 2.0, v[12:13]
	v_fma_f64 v[30:31], v[30:31], -2.0, v[14:15]
	v_fma_f64 v[32:33], v[26:27], 2.0, v[16:17]
	v_fma_f64 v[34:35], v[34:35], -2.0, v[18:19]
	v_fma_f64 v[26:27], v[79:80], -2.0, v[10:11]
	v_lshlrev_b32_e32 v38, 4, v38
	v_sub_nc_u16 v43, v42, v43
	v_sub_nc_u16 v45, v40, v45
	v_and_b32_e32 v79, 0xff, v44
	s_delay_alu instid0(VALU_DEP_4) | instskip(NEXT) | instid1(VALU_DEP_4)
	v_add_nc_u32_e32 v71, 0, v38
	v_and_b32_e32 v78, 0xff, v43
	s_delay_alu instid0(VALU_DEP_4) | instskip(NEXT) | instid1(VALU_DEP_4)
	v_and_b32_e32 v80, 0xff, v45
	v_lshlrev_b32_e32 v45, 5, v79
	s_delay_alu instid0(VALU_DEP_4) | instskip(NEXT) | instid1(VALU_DEP_4)
	v_mad_u32_u24 v43, 0x90, v42, v71
	v_lshlrev_b32_e32 v44, 5, v78
	ds_store_b128 v43, v[0:3]
	ds_store_b128 v43, v[8:11] offset:16
	ds_store_b128 v43, v[16:19] offset:32
	ds_store_b128 v43, v[4:7] offset:48
	ds_store_b128 v43, v[12:15] offset:64
	ds_store_b128 v43, v[28:31] offset:80
	ds_store_b128 v43, v[20:23] offset:96
	ds_store_b128 v43, v[32:35] offset:112
	ds_store_b128 v43, v[24:27] offset:128
	global_wb scope:SCOPE_SE
	s_wait_dscnt 0x0
	s_barrier_signal -1
	s_barrier_wait -1
	global_inv scope:SCOPE_SE
	s_clause 0x1
	global_load_b128 v[3:6], v44, s[8:9]
	global_load_b128 v[7:10], v44, s[8:9] offset:16
	v_lshlrev_b32_e32 v0, 5, v80
	s_clause 0x3
	global_load_b128 v[11:14], v45, s[8:9]
	global_load_b128 v[15:18], v45, s[8:9] offset:16
	global_load_b128 v[19:22], v0, s[8:9]
	global_load_b128 v[23:26], v0, s[8:9] offset:16
	v_lshlrev_b32_e32 v2, 7, v42
	v_lshl_add_u32 v1, v42, 4, v71
	v_and_b32_e32 v35, 0xffff, v77
	s_delay_alu instid0(VALU_DEP_3)
	v_sub_nc_u32_e32 v0, v43, v2
	ds_load_b128 v[27:30], v0 offset:1296
	ds_load_b128 v[31:34], v0 offset:2592
	;; [unrolled: 1-line block ×6, first 2 shown]
	v_mad_u32_u24 v35, 0x1b0, v35, 0
	s_wait_loadcnt_dscnt 0x505
	v_mul_f64_e32 v[59:60], v[29:30], v[5:6]
	s_wait_loadcnt_dscnt 0x404
	v_mul_f64_e32 v[61:62], v[33:34], v[9:10]
	v_mul_f64_e32 v[5:6], v[27:28], v[5:6]
	v_mul_f64_e32 v[9:10], v[31:32], v[9:10]
	s_wait_loadcnt_dscnt 0x303
	v_mul_f64_e32 v[63:64], v[45:46], v[13:14]
	s_wait_loadcnt_dscnt 0x202
	v_mul_f64_e32 v[65:66], v[49:50], v[17:18]
	v_mul_f64_e32 v[13:14], v[43:44], v[13:14]
	v_mul_f64_e32 v[17:18], v[47:48], v[17:18]
	;; [unrolled: 6-line block ×3, first 2 shown]
	v_fma_f64 v[27:28], v[27:28], v[3:4], v[59:60]
	v_fma_f64 v[31:32], v[31:32], v[7:8], v[61:62]
	v_fma_f64 v[29:30], v[29:30], v[3:4], -v[5:6]
	v_fma_f64 v[33:34], v[33:34], v[7:8], -v[9:10]
	v_fma_f64 v[43:44], v[43:44], v[11:12], v[63:64]
	v_fma_f64 v[47:48], v[47:48], v[15:16], v[65:66]
	v_fma_f64 v[45:46], v[45:46], v[11:12], -v[13:14]
	v_fma_f64 v[17:18], v[49:50], v[15:16], -v[17:18]
	;; [unrolled: 4-line block ×3, first 2 shown]
	v_lshl_add_u32 v3, v41, 4, v71
	v_lshl_add_u32 v4, v40, 4, v71
	ds_load_b128 v[5:8], v1
	ds_load_b128 v[9:12], v3
	;; [unrolled: 1-line block ×3, first 2 shown]
	global_wb scope:SCOPE_SE
	s_wait_dscnt 0x0
	s_barrier_signal -1
	s_barrier_wait -1
	global_inv scope:SCOPE_SE
	v_add_f64_e32 v[59:60], v[5:6], v[27:28]
	v_add_f64_e32 v[23:24], v[27:28], v[31:32]
	v_add_f64_e64 v[27:28], v[27:28], -v[31:32]
	v_add_f64_e32 v[25:26], v[29:30], v[33:34]
	v_add_f64_e64 v[61:62], v[29:30], -v[33:34]
	v_add_f64_e32 v[53:54], v[43:44], v[47:48]
	v_add_f64_e32 v[29:30], v[7:8], v[29:30]
	;; [unrolled: 1-line block ×8, first 2 shown]
	v_add_f64_e64 v[45:46], v[45:46], -v[17:18]
	v_add_f64_e64 v[43:44], v[43:44], -v[47:48]
	v_add_f64_e32 v[67:68], v[13:14], v[49:50]
	v_add_f64_e64 v[71:72], v[19:20], -v[21:22]
	v_add_f64_e64 v[49:50], v[49:50], -v[51:52]
	v_fma_f64 v[23:24], v[23:24], -0.5, v[5:6]
	v_add_f64_e32 v[5:6], v[59:60], v[31:32]
	v_fma_f64 v[25:26], v[25:26], -0.5, v[7:8]
	v_fma_f64 v[53:54], v[53:54], -0.5, v[9:10]
	v_add_f64_e32 v[7:8], v[29:30], v[33:34]
	v_fma_f64 v[55:56], v[55:56], -0.5, v[11:12]
	v_add_f64_e32 v[11:12], v[65:66], v[17:18]
	v_fma_f64 v[57:58], v[57:58], -0.5, v[13:14]
	v_and_b32_e32 v33, 0xffff, v75
	v_fma_f64 v[73:74], v[41:42], -0.5, v[15:16]
	v_add_f64_e32 v[15:16], v[69:70], v[21:22]
	v_add_f64_e32 v[9:10], v[63:64], v[47:48]
	v_and_b32_e32 v34, 0xffff, v76
	v_add_f64_e32 v[13:14], v[67:68], v[51:52]
	v_mad_u32_u24 v33, 0x1b0, v33, 0
	v_lshlrev_b32_e32 v48, 4, v78
	s_delay_alu instid0(VALU_DEP_4) | instskip(NEXT) | instid1(VALU_DEP_2)
	v_mad_u32_u24 v34, 0x1b0, v34, 0
	v_add3_u32 v33, v33, v48, v38
	v_fma_f64 v[17:18], v[61:62], s[24:25], v[23:24]
	v_fma_f64 v[21:22], v[61:62], s[26:27], v[23:24]
	;; [unrolled: 1-line block ×12, first 2 shown]
	v_lshlrev_b32_e32 v49, 4, v79
	v_lshlrev_b32_e32 v50, 4, v80
	s_delay_alu instid0(VALU_DEP_2) | instskip(NEXT) | instid1(VALU_DEP_2)
	v_add3_u32 v34, v34, v49, v38
	v_add3_u32 v35, v35, v50, v38
	ds_store_b128 v33, v[5:8]
	ds_store_b128 v33, v[17:20] offset:144
	ds_store_b128 v33, v[21:24] offset:288
	ds_store_b128 v34, v[9:12]
	ds_store_b128 v34, v[25:28] offset:144
	ds_store_b128 v34, v[29:32] offset:288
	;; [unrolled: 3-line block ×3, first 2 shown]
	global_wb scope:SCOPE_SE
	s_wait_dscnt 0x0
	s_barrier_signal -1
	s_barrier_wait -1
	global_inv scope:SCOPE_SE
	s_and_saveexec_b32 s24, vcc_lo
	s_cbranch_execz .LBB0_6
; %bb.5:
	s_clause 0x7
	global_load_b128 v[5:8], v2, s[8:9] offset:304
	global_load_b128 v[9:12], v2, s[8:9] offset:336
	;; [unrolled: 1-line block ×8, first 2 shown]
	ds_load_b128 v[44:47], v4
	ds_load_b128 v[48:51], v0 offset:1728
	ds_load_b128 v[52:55], v0 offset:2160
	;; [unrolled: 1-line block ×3, first 2 shown]
	ds_load_b128 v[60:63], v3
	ds_load_b128 v[64:67], v0 offset:3456
	v_add_co_u32 v92, vcc_lo, s2, v36
	v_mad_co_u64_u32 v[84:85], null, s4, v39, 0
	v_add_co_ci_u32_e32 v93, vcc_lo, s3, v37, vcc_lo
	v_add_nc_u32_e32 v95, 54, v39
	s_wait_loadcnt_dscnt 0x705
	v_mul_f64_e32 v[2:3], v[7:8], v[46:47]
	s_wait_loadcnt_dscnt 0x604
	v_mul_f64_e32 v[33:34], v[11:12], v[50:51]
	;; [unrolled: 2-line block ×3, first 2 shown]
	v_mul_f64_e32 v[11:12], v[48:49], v[11:12]
	v_mul_f64_e32 v[7:8], v[44:45], v[7:8]
	s_wait_loadcnt_dscnt 0x402
	v_mul_f64_e32 v[70:71], v[56:57], v[19:20]
	v_mul_f64_e32 v[15:16], v[52:53], v[15:16]
	;; [unrolled: 1-line block ×3, first 2 shown]
	s_wait_loadcnt_dscnt 0x301
	v_mul_f64_e32 v[72:73], v[23:24], v[62:63]
	s_wait_loadcnt_dscnt 0x200
	v_mul_f64_e32 v[74:75], v[27:28], v[66:67]
	v_mul_f64_e32 v[23:24], v[60:61], v[23:24]
	;; [unrolled: 1-line block ×3, first 2 shown]
	v_fma_f64 v[44:45], v[5:6], v[44:45], v[2:3]
	v_fma_f64 v[33:34], v[9:10], v[48:49], v[33:34]
	;; [unrolled: 1-line block ×3, first 2 shown]
	v_fma_f64 v[50:51], v[9:10], v[50:51], -v[11:12]
	v_fma_f64 v[46:47], v[5:6], v[46:47], -v[7:8]
	;; [unrolled: 1-line block ×4, first 2 shown]
	v_fma_f64 v[16:17], v[17:18], v[56:57], v[19:20]
	v_fma_f64 v[18:19], v[21:22], v[60:61], v[72:73]
	;; [unrolled: 1-line block ×3, first 2 shown]
	v_fma_f64 v[20:21], v[21:22], v[62:63], -v[23:24]
	v_fma_f64 v[22:23], v[25:26], v[66:67], -v[27:28]
	ds_load_b128 v[2:5], v0 offset:1296
	ds_load_b128 v[6:9], v0 offset:2592
	ds_load_b128 v[10:13], v1
	s_wait_loadcnt_dscnt 0x102
	v_mul_f64_e32 v[0:1], v[2:3], v[31:32]
	s_wait_loadcnt_dscnt 0x1
	v_mul_f64_e32 v[24:25], v[6:7], v[42:43]
	v_mul_f64_e32 v[26:27], v[31:32], v[4:5]
	;; [unrolled: 1-line block ×3, first 2 shown]
	v_add_f64_e64 v[42:43], v[33:34], -v[48:49]
	v_add_f64_e32 v[64:65], v[33:34], v[48:49]
	v_add_f64_e32 v[56:57], v[46:47], v[52:53]
	v_add_f64_e64 v[58:59], v[50:51], -v[14:15]
	v_add_f64_e32 v[60:61], v[44:45], v[16:17]
	v_add_f64_e32 v[62:63], v[50:51], v[14:15]
	;; [unrolled: 3-line block ×3, first 2 shown]
	v_add_f64_e64 v[20:21], v[20:21], -v[22:23]
	v_fma_f64 v[0:1], v[29:30], v[4:5], -v[0:1]
	v_fma_f64 v[4:5], v[40:41], v[8:9], -v[24:25]
	v_fma_f64 v[2:3], v[29:30], v[2:3], v[26:27]
	v_fma_f64 v[6:7], v[40:41], v[6:7], v[31:32]
	v_add_f64_e64 v[8:9], v[44:45], -v[16:17]
	v_add_f64_e64 v[16:17], v[46:47], -v[52:53]
	v_mul_f64_e32 v[22:23], s[14:15], v[42:43]
	v_mul_f64_e32 v[30:31], s[20:21], v[42:43]
	s_wait_dscnt 0x0
	v_fma_f64 v[46:47], v[64:65], s[16:17], v[10:11]
	v_fma_f64 v[24:25], v[56:57], s[16:17], v[12:13]
	v_mul_f64_e32 v[26:27], s[14:15], v[58:59]
	v_fma_f64 v[28:29], v[60:61], s[16:17], v[10:11]
	v_fma_f64 v[40:41], v[62:63], s[16:17], v[12:13]
	v_mul_f64_e32 v[44:45], s[20:21], v[58:59]
	v_mul_f64_e32 v[52:53], s[18:19], v[66:67]
	v_fma_f64 v[54:55], v[68:69], s[16:17], v[12:13]
	v_mul_f64_e32 v[70:71], s[18:19], v[20:21]
	v_fma_f64 v[72:73], v[18:19], s[16:17], v[10:11]
	v_add_f64_e32 v[76:77], v[56:57], v[68:69]
	v_add_f64_e32 v[80:81], v[60:61], v[18:19]
	;; [unrolled: 1-line block ×5, first 2 shown]
	v_add_f64_e64 v[0:1], v[0:1], -v[4:5]
	v_add_f64_e32 v[78:79], v[2:3], v[6:7]
	v_add_f64_e64 v[2:3], v[2:3], -v[6:7]
	v_fma_f64 v[4:5], v[8:9], s[20:21], -v[22:23]
	v_fma_f64 v[6:7], v[62:63], s[22:23], v[24:25]
	v_fma_f64 v[22:23], v[16:17], s[20:21], -v[26:27]
	v_fma_f64 v[24:25], v[64:65], s[22:23], v[28:29]
	v_fma_f64 v[26:27], v[66:67], s[14:15], v[30:31]
	;; [unrolled: 1-line block ×9, first 2 shown]
	v_add_f64_e32 v[70:71], v[74:75], v[76:77]
	v_add_f64_e32 v[82:83], v[74:75], v[12:13]
	;; [unrolled: 1-line block ×6, first 2 shown]
	v_fma_f64 v[4:5], v[2:3], s[0:1], v[4:5]
	v_fma_f64 v[6:7], v[74:75], -0.5, v[6:7]
	v_fma_f64 v[22:23], v[0:1], s[0:1], v[22:23]
	v_fma_f64 v[24:25], v[78:79], -0.5, v[24:25]
	;; [unrolled: 2-line block ×4, first 2 shown]
	v_fma_f64 v[2:3], v[2:3], s[0:1], v[44:45]
	v_fma_f64 v[0:1], v[0:1], s[0:1], v[52:53]
	v_fma_f64 v[44:45], v[74:75], -0.5, v[46:47]
	v_fma_f64 v[46:47], v[78:79], -0.5, v[54:55]
	v_add_f64_e64 v[78:79], v[90:91], -v[16:17]
	v_add_f64_e32 v[37:38], v[50:51], v[70:71]
	v_add_f64_e32 v[32:33], v[33:34], v[72:73]
	v_fma_f64 v[54:55], v[76:77], -0.5, v[82:83]
	v_add_f64_e64 v[76:77], v[88:89], -v[8:9]
	v_fma_f64 v[72:73], v[80:81], -0.5, v[86:87]
	v_fma_f64 v[66:67], v[66:67], s[10:11], v[4:5]
	v_fma_f64 v[4:5], v[68:69], s[12:13], v[6:7]
	;; [unrolled: 1-line block ×10, first 2 shown]
	v_mov_b32_e32 v0, v85
	v_mad_co_u64_u32 v[50:51], null, s4, v95, 0
	v_add_nc_u32_e32 v94, 27, v39
	v_fma_f64 v[24:25], v[62:63], s[12:13], v[44:45]
	v_fma_f64 v[26:27], v[64:65], s[12:13], v[46:47]
	v_mad_co_u64_u32 v[56:57], null, s5, v39, v[0:1]
	v_dual_mov_b32 v1, v51 :: v_dual_add_nc_u32 v98, 0x87, v39
	v_mad_co_u64_u32 v[35:36], null, s4, v94, 0
	v_add_nc_u32_e32 v97, 0x6c, v39
	v_mul_f64_e32 v[64:65], s[0:1], v[78:79]
	v_mov_b32_e32 v85, v56
	v_mad_co_u64_u32 v[74:75], null, s4, v98, 0
	v_dual_mov_b32 v0, v36 :: v_dual_add_nc_u32 v101, 0xd8, v39
	v_mad_co_u64_u32 v[70:71], null, s4, v97, 0
	v_add_nc_u32_e32 v96, 0x51, v39
	v_add_f64_e32 v[37:38], v[14:15], v[37:38]
	v_mov_b32_e32 v6, v75
	v_add_f64_e32 v[32:33], v[48:49], v[32:33]
	v_mad_co_u64_u32 v[57:58], null, s5, v94, v[0:1]
	v_mov_b32_e32 v3, v71
	v_mad_co_u64_u32 v[52:53], null, s4, v96, 0
	v_add_nc_u32_e32 v99, 0xa2, v39
	v_mad_co_u64_u32 v[46:47], null, s4, v101, 0
	v_add_f64_e32 v[16:17], v[8:9], v[20:21]
	v_add_f64_e64 v[14:15], v[22:23], -v[30:31]
	v_mov_b32_e32 v2, v53
	v_mad_co_u64_u32 v[28:29], null, s4, v99, 0
	s_delay_alu instid0(VALU_DEP_2)
	v_mad_co_u64_u32 v[58:59], null, s5, v95, v[1:2]
	v_mad_co_u64_u32 v[59:60], null, s5, v96, v[2:3]
	;; [unrolled: 1-line block ×4, first 2 shown]
	v_add_f64_e32 v[6:7], v[66:67], v[4:5]
	v_add_f64_e64 v[4:5], v[18:19], -v[68:69]
	v_mul_f64_e32 v[62:63], s[0:1], v[76:77]
	v_fma_f64 v[2:3], v[76:77], s[0:1], v[54:55]
	v_fma_f64 v[0:1], v[78:79], s[6:7], v[72:73]
	v_add_f64_e32 v[20:21], v[40:41], v[24:25]
	v_add_f64_e64 v[18:19], v[26:27], -v[42:43]
	v_dual_mov_b32 v51, v58 :: v_dual_add_nc_u32 v100, 0xbd, v39
	v_dual_mov_b32 v36, v47 :: v_dual_mov_b32 v71, v60
	v_mad_co_u64_u32 v[22:23], null, s5, v99, v[29:30]
	s_delay_alu instid0(VALU_DEP_3)
	v_mad_co_u64_u32 v[44:45], null, s4, v100, 0
	v_mov_b32_e32 v53, v59
	v_add_f64_e32 v[12:13], v[12:13], v[37:38]
	v_add_f64_e32 v[10:11], v[10:11], v[32:33]
	v_mov_b32_e32 v75, v61
	v_mov_b32_e32 v29, v22
	v_lshlrev_b64_e32 v[50:51], 4, v[50:51]
	v_mov_b32_e32 v34, v45
	v_fma_f64 v[32:33], v[8:9], -2.0, v[16:17]
	v_lshlrev_b64_e32 v[52:53], 4, v[52:53]
	v_lshlrev_b64_e32 v[58:59], 4, v[28:29]
	v_fma_f64 v[30:31], v[30:31], 2.0, v[14:15]
	v_mad_co_u64_u32 v[23:24], null, s5, v100, v[34:35]
	v_mad_co_u64_u32 v[24:25], null, s5, v101, v[36:37]
	v_lshlrev_b64_e32 v[25:26], 4, v[84:85]
	v_mov_b32_e32 v36, v57
	v_lshlrev_b64_e32 v[54:55], 4, v[70:71]
	v_lshlrev_b64_e32 v[56:57], 4, v[74:75]
	v_mov_b32_e32 v45, v23
	v_add_co_u32 v60, vcc_lo, v92, v25
	s_wait_alu 0xfffd
	v_add_co_ci_u32_e32 v61, vcc_lo, v93, v26, vcc_lo
	v_fma_f64 v[28:29], v[66:67], -2.0, v[6:7]
	v_fma_f64 v[26:27], v[68:69], 2.0, v[4:5]
	v_mov_b32_e32 v47, v24
	v_fma_f64 v[24:25], v[62:63], -2.0, v[2:3]
	v_fma_f64 v[22:23], v[64:65], 2.0, v[0:1]
	v_lshlrev_b64_e32 v[48:49], 4, v[35:36]
	v_fma_f64 v[36:37], v[40:41], -2.0, v[20:21]
	v_fma_f64 v[34:35], v[42:43], 2.0, v[18:19]
	v_lshlrev_b64_e32 v[44:45], 4, v[44:45]
	v_lshlrev_b64_e32 v[46:47], 4, v[46:47]
	v_add_co_u32 v8, vcc_lo, v92, v48
	s_wait_alu 0xfffd
	v_add_co_ci_u32_e32 v9, vcc_lo, v93, v49, vcc_lo
	v_add_co_u32 v38, vcc_lo, v92, v50
	s_wait_alu 0xfffd
	v_add_co_ci_u32_e32 v39, vcc_lo, v93, v51, vcc_lo
	;; [unrolled: 3-line block ×8, first 2 shown]
	s_clause 0x8
	global_store_b128 v[60:61], v[10:13], off
	global_store_b128 v[8:9], v[18:21], off
	;; [unrolled: 1-line block ×9, first 2 shown]
.LBB0_6:
	s_nop 0
	s_sendmsg sendmsg(MSG_DEALLOC_VGPRS)
	s_endpgm
	.section	.rodata,"a",@progbits
	.p2align	6, 0x0
	.amdhsa_kernel fft_rtc_back_len243_factors_9_3_9_wgs_189_tpt_27_dim1_dp_ip_CI_sbrr_dirReg
		.amdhsa_group_segment_fixed_size 0
		.amdhsa_private_segment_fixed_size 0
		.amdhsa_kernarg_size 80
		.amdhsa_user_sgpr_count 2
		.amdhsa_user_sgpr_dispatch_ptr 0
		.amdhsa_user_sgpr_queue_ptr 0
		.amdhsa_user_sgpr_kernarg_segment_ptr 1
		.amdhsa_user_sgpr_dispatch_id 0
		.amdhsa_user_sgpr_private_segment_size 0
		.amdhsa_wavefront_size32 1
		.amdhsa_uses_dynamic_stack 0
		.amdhsa_enable_private_segment 0
		.amdhsa_system_sgpr_workgroup_id_x 1
		.amdhsa_system_sgpr_workgroup_id_y 0
		.amdhsa_system_sgpr_workgroup_id_z 0
		.amdhsa_system_sgpr_workgroup_info 0
		.amdhsa_system_vgpr_workitem_id 0
		.amdhsa_next_free_vgpr 102
		.amdhsa_next_free_sgpr 28
		.amdhsa_reserve_vcc 1
		.amdhsa_float_round_mode_32 0
		.amdhsa_float_round_mode_16_64 0
		.amdhsa_float_denorm_mode_32 3
		.amdhsa_float_denorm_mode_16_64 3
		.amdhsa_fp16_overflow 0
		.amdhsa_workgroup_processor_mode 1
		.amdhsa_memory_ordered 1
		.amdhsa_forward_progress 0
		.amdhsa_round_robin_scheduling 0
		.amdhsa_exception_fp_ieee_invalid_op 0
		.amdhsa_exception_fp_denorm_src 0
		.amdhsa_exception_fp_ieee_div_zero 0
		.amdhsa_exception_fp_ieee_overflow 0
		.amdhsa_exception_fp_ieee_underflow 0
		.amdhsa_exception_fp_ieee_inexact 0
		.amdhsa_exception_int_div_zero 0
	.end_amdhsa_kernel
	.text
.Lfunc_end0:
	.size	fft_rtc_back_len243_factors_9_3_9_wgs_189_tpt_27_dim1_dp_ip_CI_sbrr_dirReg, .Lfunc_end0-fft_rtc_back_len243_factors_9_3_9_wgs_189_tpt_27_dim1_dp_ip_CI_sbrr_dirReg
                                        ; -- End function
	.section	.AMDGPU.csdata,"",@progbits
; Kernel info:
; codeLenInByte = 4592
; NumSgprs: 30
; NumVgprs: 102
; ScratchSize: 0
; MemoryBound: 1
; FloatMode: 240
; IeeeMode: 1
; LDSByteSize: 0 bytes/workgroup (compile time only)
; SGPRBlocks: 3
; VGPRBlocks: 12
; NumSGPRsForWavesPerEU: 30
; NumVGPRsForWavesPerEU: 102
; Occupancy: 12
; WaveLimiterHint : 1
; COMPUTE_PGM_RSRC2:SCRATCH_EN: 0
; COMPUTE_PGM_RSRC2:USER_SGPR: 2
; COMPUTE_PGM_RSRC2:TRAP_HANDLER: 0
; COMPUTE_PGM_RSRC2:TGID_X_EN: 1
; COMPUTE_PGM_RSRC2:TGID_Y_EN: 0
; COMPUTE_PGM_RSRC2:TGID_Z_EN: 0
; COMPUTE_PGM_RSRC2:TIDIG_COMP_CNT: 0
	.text
	.p2alignl 7, 3214868480
	.fill 96, 4, 3214868480
	.type	__hip_cuid_db8300bb92738b96,@object ; @__hip_cuid_db8300bb92738b96
	.section	.bss,"aw",@nobits
	.globl	__hip_cuid_db8300bb92738b96
__hip_cuid_db8300bb92738b96:
	.byte	0                               ; 0x0
	.size	__hip_cuid_db8300bb92738b96, 1

	.ident	"AMD clang version 19.0.0git (https://github.com/RadeonOpenCompute/llvm-project roc-6.4.0 25133 c7fe45cf4b819c5991fe208aaa96edf142730f1d)"
	.section	".note.GNU-stack","",@progbits
	.addrsig
	.addrsig_sym __hip_cuid_db8300bb92738b96
	.amdgpu_metadata
---
amdhsa.kernels:
  - .args:
      - .actual_access:  read_only
        .address_space:  global
        .offset:         0
        .size:           8
        .value_kind:     global_buffer
      - .actual_access:  read_only
        .address_space:  global
        .offset:         8
        .size:           8
        .value_kind:     global_buffer
      - .actual_access:  read_only
        .address_space:  global
        .offset:         16
        .size:           8
        .value_kind:     global_buffer
      - .offset:         24
        .size:           8
        .value_kind:     by_value
      - .actual_access:  read_only
        .address_space:  global
        .offset:         32
        .size:           8
        .value_kind:     global_buffer
      - .actual_access:  read_only
        .address_space:  global
        .offset:         40
        .size:           8
        .value_kind:     global_buffer
      - .offset:         48
        .size:           4
        .value_kind:     by_value
      - .actual_access:  read_only
        .address_space:  global
        .offset:         56
        .size:           8
        .value_kind:     global_buffer
      - .actual_access:  read_only
        .address_space:  global
        .offset:         64
        .size:           8
        .value_kind:     global_buffer
      - .address_space:  global
        .offset:         72
        .size:           8
        .value_kind:     global_buffer
    .group_segment_fixed_size: 0
    .kernarg_segment_align: 8
    .kernarg_segment_size: 80
    .language:       OpenCL C
    .language_version:
      - 2
      - 0
    .max_flat_workgroup_size: 189
    .name:           fft_rtc_back_len243_factors_9_3_9_wgs_189_tpt_27_dim1_dp_ip_CI_sbrr_dirReg
    .private_segment_fixed_size: 0
    .sgpr_count:     30
    .sgpr_spill_count: 0
    .symbol:         fft_rtc_back_len243_factors_9_3_9_wgs_189_tpt_27_dim1_dp_ip_CI_sbrr_dirReg.kd
    .uniform_work_group_size: 1
    .uses_dynamic_stack: false
    .vgpr_count:     102
    .vgpr_spill_count: 0
    .wavefront_size: 32
    .workgroup_processor_mode: 1
amdhsa.target:   amdgcn-amd-amdhsa--gfx1201
amdhsa.version:
  - 1
  - 2
...

	.end_amdgpu_metadata
